;; amdgpu-corpus repo=ROCm/rocFFT kind=compiled arch=gfx1201 opt=O3
	.text
	.amdgcn_target "amdgcn-amd-amdhsa--gfx1201"
	.amdhsa_code_object_version 6
	.protected	fft_rtc_back_len91_factors_7_13_wgs_247_tpt_13_dp_op_CI_CI_unitstride_sbrr_dirReg ; -- Begin function fft_rtc_back_len91_factors_7_13_wgs_247_tpt_13_dp_op_CI_CI_unitstride_sbrr_dirReg
	.globl	fft_rtc_back_len91_factors_7_13_wgs_247_tpt_13_dp_op_CI_CI_unitstride_sbrr_dirReg
	.p2align	8
	.type	fft_rtc_back_len91_factors_7_13_wgs_247_tpt_13_dp_op_CI_CI_unitstride_sbrr_dirReg,@function
fft_rtc_back_len91_factors_7_13_wgs_247_tpt_13_dp_op_CI_CI_unitstride_sbrr_dirReg: ; @fft_rtc_back_len91_factors_7_13_wgs_247_tpt_13_dp_op_CI_CI_unitstride_sbrr_dirReg
; %bb.0:
	s_load_b128 s[8:11], s[0:1], 0x0
	v_mul_u32_u24_e32 v1, 0x13b2, v0
	s_clause 0x1
	s_load_b128 s[4:7], s[0:1], 0x58
	s_load_b128 s[12:15], s[0:1], 0x18
	v_mov_b32_e32 v4, 0
	v_lshrrev_b32_e32 v2, 16, v1
	v_mov_b32_e32 v1, 0
	s_delay_alu instid0(VALU_DEP_2) | instskip(NEXT) | instid1(VALU_DEP_2)
	v_mad_co_u64_u32 v[28:29], null, ttmp9, 19, v[2:3]
	v_mov_b32_e32 v29, v1
	v_mov_b32_e32 v5, 0
	s_delay_alu instid0(VALU_DEP_2) | instskip(SKIP_2) | instid1(VALU_DEP_3)
	v_dual_mov_b32 v55, v29 :: v_dual_mov_b32 v54, v28
	s_wait_kmcnt 0x0
	v_cmp_lt_u64_e64 s2, s[10:11], 2
	v_dual_mov_b32 v53, v5 :: v_dual_mov_b32 v52, v4
	s_delay_alu instid0(VALU_DEP_2)
	s_and_b32 vcc_lo, exec_lo, s2
	s_cbranch_vccnz .LBB0_8
; %bb.1:
	s_load_b64 s[2:3], s[0:1], 0x10
	v_mov_b32_e32 v4, 0
	v_dual_mov_b32 v5, 0 :: v_dual_mov_b32 v6, v28
	v_mov_b32_e32 v7, v29
	s_add_nc_u64 s[16:17], s[14:15], 8
	s_add_nc_u64 s[18:19], s[12:13], 8
	s_delay_alu instid0(VALU_DEP_2)
	v_dual_mov_b32 v53, v5 :: v_dual_mov_b32 v52, v4
	s_mov_b64 s[20:21], 1
	s_wait_kmcnt 0x0
	s_add_nc_u64 s[22:23], s[2:3], 8
	s_mov_b32 s3, 0
.LBB0_2:                                ; =>This Inner Loop Header: Depth=1
	s_load_b64 s[24:25], s[22:23], 0x0
                                        ; implicit-def: $vgpr54_vgpr55
	s_mov_b32 s2, exec_lo
	s_wait_kmcnt 0x0
	v_or_b32_e32 v2, s25, v7
	s_delay_alu instid0(VALU_DEP_1)
	v_cmpx_ne_u64_e32 0, v[1:2]
	s_wait_alu 0xfffe
	s_xor_b32 s26, exec_lo, s2
	s_cbranch_execz .LBB0_4
; %bb.3:                                ;   in Loop: Header=BB0_2 Depth=1
	s_cvt_f32_u32 s2, s24
	s_cvt_f32_u32 s27, s25
	s_sub_nc_u64 s[30:31], 0, s[24:25]
	s_wait_alu 0xfffe
	s_delay_alu instid0(SALU_CYCLE_1) | instskip(SKIP_1) | instid1(SALU_CYCLE_2)
	s_fmamk_f32 s2, s27, 0x4f800000, s2
	s_wait_alu 0xfffe
	v_s_rcp_f32 s2, s2
	s_delay_alu instid0(TRANS32_DEP_1) | instskip(SKIP_1) | instid1(SALU_CYCLE_2)
	s_mul_f32 s2, s2, 0x5f7ffffc
	s_wait_alu 0xfffe
	s_mul_f32 s27, s2, 0x2f800000
	s_wait_alu 0xfffe
	s_delay_alu instid0(SALU_CYCLE_2) | instskip(SKIP_1) | instid1(SALU_CYCLE_2)
	s_trunc_f32 s27, s27
	s_wait_alu 0xfffe
	s_fmamk_f32 s2, s27, 0xcf800000, s2
	s_cvt_u32_f32 s29, s27
	s_wait_alu 0xfffe
	s_delay_alu instid0(SALU_CYCLE_1) | instskip(SKIP_1) | instid1(SALU_CYCLE_2)
	s_cvt_u32_f32 s28, s2
	s_wait_alu 0xfffe
	s_mul_u64 s[34:35], s[30:31], s[28:29]
	s_wait_alu 0xfffe
	s_mul_hi_u32 s37, s28, s35
	s_mul_i32 s36, s28, s35
	s_mul_hi_u32 s2, s28, s34
	s_mul_i32 s33, s29, s34
	s_wait_alu 0xfffe
	s_add_nc_u64 s[36:37], s[2:3], s[36:37]
	s_mul_hi_u32 s27, s29, s34
	s_mul_hi_u32 s38, s29, s35
	s_add_co_u32 s2, s36, s33
	s_wait_alu 0xfffe
	s_add_co_ci_u32 s2, s37, s27
	s_mul_i32 s34, s29, s35
	s_add_co_ci_u32 s35, s38, 0
	s_wait_alu 0xfffe
	s_add_nc_u64 s[34:35], s[2:3], s[34:35]
	s_wait_alu 0xfffe
	v_add_co_u32 v2, s2, s28, s34
	s_delay_alu instid0(VALU_DEP_1) | instskip(SKIP_1) | instid1(VALU_DEP_1)
	s_cmp_lg_u32 s2, 0
	s_add_co_ci_u32 s29, s29, s35
	v_readfirstlane_b32 s28, v2
	s_wait_alu 0xfffe
	s_delay_alu instid0(VALU_DEP_1)
	s_mul_u64 s[30:31], s[30:31], s[28:29]
	s_wait_alu 0xfffe
	s_mul_hi_u32 s35, s28, s31
	s_mul_i32 s34, s28, s31
	s_mul_hi_u32 s2, s28, s30
	s_mul_i32 s33, s29, s30
	s_wait_alu 0xfffe
	s_add_nc_u64 s[34:35], s[2:3], s[34:35]
	s_mul_hi_u32 s27, s29, s30
	s_mul_hi_u32 s28, s29, s31
	s_wait_alu 0xfffe
	s_add_co_u32 s2, s34, s33
	s_add_co_ci_u32 s2, s35, s27
	s_mul_i32 s30, s29, s31
	s_add_co_ci_u32 s31, s28, 0
	s_wait_alu 0xfffe
	s_add_nc_u64 s[30:31], s[2:3], s[30:31]
	s_wait_alu 0xfffe
	v_add_co_u32 v8, s2, v2, s30
	s_delay_alu instid0(VALU_DEP_1) | instskip(SKIP_1) | instid1(VALU_DEP_1)
	s_cmp_lg_u32 s2, 0
	s_add_co_ci_u32 s2, s29, s31
	v_mul_hi_u32 v12, v6, v8
	s_wait_alu 0xfffe
	v_mad_co_u64_u32 v[2:3], null, v6, s2, 0
	v_mad_co_u64_u32 v[8:9], null, v7, v8, 0
	;; [unrolled: 1-line block ×3, first 2 shown]
	s_delay_alu instid0(VALU_DEP_3) | instskip(SKIP_1) | instid1(VALU_DEP_4)
	v_add_co_u32 v2, vcc_lo, v12, v2
	s_wait_alu 0xfffd
	v_add_co_ci_u32_e32 v3, vcc_lo, 0, v3, vcc_lo
	s_delay_alu instid0(VALU_DEP_2) | instskip(SKIP_1) | instid1(VALU_DEP_2)
	v_add_co_u32 v2, vcc_lo, v2, v8
	s_wait_alu 0xfffd
	v_add_co_ci_u32_e32 v2, vcc_lo, v3, v9, vcc_lo
	s_wait_alu 0xfffd
	v_add_co_ci_u32_e32 v3, vcc_lo, 0, v11, vcc_lo
	s_delay_alu instid0(VALU_DEP_2) | instskip(SKIP_1) | instid1(VALU_DEP_2)
	v_add_co_u32 v8, vcc_lo, v2, v10
	s_wait_alu 0xfffd
	v_add_co_ci_u32_e32 v9, vcc_lo, 0, v3, vcc_lo
	s_delay_alu instid0(VALU_DEP_2) | instskip(SKIP_1) | instid1(VALU_DEP_3)
	v_mul_lo_u32 v10, s25, v8
	v_mad_co_u64_u32 v[2:3], null, s24, v8, 0
	v_mul_lo_u32 v11, s24, v9
	s_delay_alu instid0(VALU_DEP_2) | instskip(NEXT) | instid1(VALU_DEP_2)
	v_sub_co_u32 v2, vcc_lo, v6, v2
	v_add3_u32 v3, v3, v11, v10
	s_delay_alu instid0(VALU_DEP_1) | instskip(SKIP_1) | instid1(VALU_DEP_1)
	v_sub_nc_u32_e32 v10, v7, v3
	s_wait_alu 0xfffd
	v_subrev_co_ci_u32_e64 v10, s2, s25, v10, vcc_lo
	v_add_co_u32 v11, s2, v8, 2
	s_wait_alu 0xf1ff
	v_add_co_ci_u32_e64 v12, s2, 0, v9, s2
	v_sub_co_u32 v13, s2, v2, s24
	v_sub_co_ci_u32_e32 v3, vcc_lo, v7, v3, vcc_lo
	s_wait_alu 0xf1ff
	v_subrev_co_ci_u32_e64 v10, s2, 0, v10, s2
	s_delay_alu instid0(VALU_DEP_3) | instskip(NEXT) | instid1(VALU_DEP_3)
	v_cmp_le_u32_e32 vcc_lo, s24, v13
	v_cmp_eq_u32_e64 s2, s25, v3
	s_wait_alu 0xfffd
	v_cndmask_b32_e64 v13, 0, -1, vcc_lo
	v_cmp_le_u32_e32 vcc_lo, s25, v10
	s_wait_alu 0xfffd
	v_cndmask_b32_e64 v14, 0, -1, vcc_lo
	v_cmp_le_u32_e32 vcc_lo, s24, v2
	;; [unrolled: 3-line block ×3, first 2 shown]
	s_wait_alu 0xfffd
	v_cndmask_b32_e64 v15, 0, -1, vcc_lo
	v_cmp_eq_u32_e32 vcc_lo, s25, v10
	s_wait_alu 0xf1ff
	s_delay_alu instid0(VALU_DEP_2)
	v_cndmask_b32_e64 v2, v15, v2, s2
	s_wait_alu 0xfffd
	v_cndmask_b32_e32 v10, v14, v13, vcc_lo
	v_add_co_u32 v13, vcc_lo, v8, 1
	s_wait_alu 0xfffd
	v_add_co_ci_u32_e32 v14, vcc_lo, 0, v9, vcc_lo
	s_delay_alu instid0(VALU_DEP_3) | instskip(SKIP_1) | instid1(VALU_DEP_2)
	v_cmp_ne_u32_e32 vcc_lo, 0, v10
	s_wait_alu 0xfffd
	v_dual_cndmask_b32 v3, v14, v12 :: v_dual_cndmask_b32 v10, v13, v11
	v_cmp_ne_u32_e32 vcc_lo, 0, v2
	s_wait_alu 0xfffd
	s_delay_alu instid0(VALU_DEP_2)
	v_dual_cndmask_b32 v55, v9, v3 :: v_dual_cndmask_b32 v54, v8, v10
.LBB0_4:                                ;   in Loop: Header=BB0_2 Depth=1
	s_wait_alu 0xfffe
	s_and_not1_saveexec_b32 s2, s26
	s_cbranch_execz .LBB0_6
; %bb.5:                                ;   in Loop: Header=BB0_2 Depth=1
	v_cvt_f32_u32_e32 v2, s24
	s_sub_co_i32 s26, 0, s24
	v_mov_b32_e32 v55, v1
	s_delay_alu instid0(VALU_DEP_2) | instskip(NEXT) | instid1(TRANS32_DEP_1)
	v_rcp_iflag_f32_e32 v2, v2
	v_mul_f32_e32 v2, 0x4f7ffffe, v2
	s_delay_alu instid0(VALU_DEP_1) | instskip(SKIP_1) | instid1(VALU_DEP_1)
	v_cvt_u32_f32_e32 v2, v2
	s_wait_alu 0xfffe
	v_mul_lo_u32 v3, s26, v2
	s_delay_alu instid0(VALU_DEP_1) | instskip(NEXT) | instid1(VALU_DEP_1)
	v_mul_hi_u32 v3, v2, v3
	v_add_nc_u32_e32 v2, v2, v3
	s_delay_alu instid0(VALU_DEP_1) | instskip(NEXT) | instid1(VALU_DEP_1)
	v_mul_hi_u32 v2, v6, v2
	v_mul_lo_u32 v3, v2, s24
	v_add_nc_u32_e32 v8, 1, v2
	s_delay_alu instid0(VALU_DEP_2) | instskip(NEXT) | instid1(VALU_DEP_1)
	v_sub_nc_u32_e32 v3, v6, v3
	v_subrev_nc_u32_e32 v9, s24, v3
	v_cmp_le_u32_e32 vcc_lo, s24, v3
	s_wait_alu 0xfffd
	s_delay_alu instid0(VALU_DEP_2) | instskip(NEXT) | instid1(VALU_DEP_1)
	v_dual_cndmask_b32 v3, v3, v9 :: v_dual_cndmask_b32 v2, v2, v8
	v_cmp_le_u32_e32 vcc_lo, s24, v3
	s_delay_alu instid0(VALU_DEP_2) | instskip(SKIP_1) | instid1(VALU_DEP_1)
	v_add_nc_u32_e32 v8, 1, v2
	s_wait_alu 0xfffd
	v_cndmask_b32_e32 v54, v2, v8, vcc_lo
.LBB0_6:                                ;   in Loop: Header=BB0_2 Depth=1
	s_wait_alu 0xfffe
	s_or_b32 exec_lo, exec_lo, s2
	v_mul_lo_u32 v8, v55, s24
	s_delay_alu instid0(VALU_DEP_2)
	v_mul_lo_u32 v9, v54, s25
	s_load_b64 s[26:27], s[18:19], 0x0
	v_mad_co_u64_u32 v[2:3], null, v54, s24, 0
	s_load_b64 s[24:25], s[16:17], 0x0
	s_add_nc_u64 s[20:21], s[20:21], 1
	s_add_nc_u64 s[16:17], s[16:17], 8
	s_wait_alu 0xfffe
	v_cmp_ge_u64_e64 s2, s[20:21], s[10:11]
	s_add_nc_u64 s[18:19], s[18:19], 8
	s_add_nc_u64 s[22:23], s[22:23], 8
	v_add3_u32 v3, v3, v9, v8
	v_sub_co_u32 v2, vcc_lo, v6, v2
	s_wait_alu 0xfffd
	s_delay_alu instid0(VALU_DEP_2) | instskip(SKIP_2) | instid1(VALU_DEP_1)
	v_sub_co_ci_u32_e32 v3, vcc_lo, v7, v3, vcc_lo
	s_and_b32 vcc_lo, exec_lo, s2
	s_wait_kmcnt 0x0
	v_mul_lo_u32 v6, s26, v3
	v_mul_lo_u32 v7, s27, v2
	v_mad_co_u64_u32 v[4:5], null, s26, v2, v[4:5]
	v_mul_lo_u32 v3, s24, v3
	v_mul_lo_u32 v8, s25, v2
	v_mad_co_u64_u32 v[52:53], null, s24, v2, v[52:53]
	s_delay_alu instid0(VALU_DEP_4) | instskip(NEXT) | instid1(VALU_DEP_2)
	v_add3_u32 v5, v7, v5, v6
	v_add3_u32 v53, v8, v53, v3
	s_wait_alu 0xfffe
	s_cbranch_vccnz .LBB0_8
; %bb.7:                                ;   in Loop: Header=BB0_2 Depth=1
	v_dual_mov_b32 v6, v54 :: v_dual_mov_b32 v7, v55
	s_branch .LBB0_2
.LBB0_8:
	s_load_b64 s[0:1], s[0:1], 0x28
	v_mul_hi_u32 v1, 0x13b13b14, v0
	s_lshl_b64 s[10:11], s[10:11], 3
                                        ; implicit-def: $vgpr213
	s_wait_kmcnt 0x0
	v_cmp_gt_u64_e32 vcc_lo, s[0:1], v[54:55]
	v_cmp_le_u64_e64 s0, s[0:1], v[54:55]
	s_delay_alu instid0(VALU_DEP_1)
	s_and_saveexec_b32 s1, s0
	s_wait_alu 0xfffe
	s_xor_b32 s0, exec_lo, s1
; %bb.9:
	v_mul_u32_u24_e32 v1, 13, v1
                                        ; implicit-def: $vgpr4_vgpr5
	s_delay_alu instid0(VALU_DEP_1)
	v_sub_nc_u32_e32 v213, v0, v1
                                        ; implicit-def: $vgpr1
                                        ; implicit-def: $vgpr0
; %bb.10:
	s_wait_alu 0xfffe
	s_or_saveexec_b32 s1, s0
	s_add_nc_u64 s[2:3], s[14:15], s[10:11]
                                        ; implicit-def: $vgpr26_vgpr27
                                        ; implicit-def: $vgpr22_vgpr23
                                        ; implicit-def: $vgpr18_vgpr19
                                        ; implicit-def: $vgpr14_vgpr15
                                        ; implicit-def: $vgpr10_vgpr11
                                        ; implicit-def: $vgpr6_vgpr7
                                        ; implicit-def: $vgpr2_vgpr3
	s_wait_alu 0xfffe
	s_xor_b32 exec_lo, exec_lo, s1
	s_cbranch_execz .LBB0_12
; %bb.11:
	s_add_nc_u64 s[10:11], s[12:13], s[10:11]
	s_load_b64 s[10:11], s[10:11], 0x0
	s_wait_kmcnt 0x0
	v_mul_lo_u32 v6, s11, v54
	v_mul_lo_u32 v7, s10, v55
	v_mad_co_u64_u32 v[2:3], null, s10, v54, 0
	s_delay_alu instid0(VALU_DEP_1) | instskip(SKIP_1) | instid1(VALU_DEP_2)
	v_add3_u32 v3, v3, v7, v6
	v_mul_u32_u24_e32 v6, 13, v1
	v_lshlrev_b64_e32 v[1:2], 4, v[2:3]
	v_lshlrev_b64_e32 v[3:4], 4, v[4:5]
	s_delay_alu instid0(VALU_DEP_3) | instskip(NEXT) | instid1(VALU_DEP_3)
	v_sub_nc_u32_e32 v213, v0, v6
	v_add_co_u32 v0, s0, s4, v1
	s_wait_alu 0xf1ff
	s_delay_alu instid0(VALU_DEP_4) | instskip(NEXT) | instid1(VALU_DEP_3)
	v_add_co_ci_u32_e64 v1, s0, s5, v2, s0
	v_lshlrev_b32_e32 v2, 4, v213
	s_delay_alu instid0(VALU_DEP_3) | instskip(SKIP_1) | instid1(VALU_DEP_3)
	v_add_co_u32 v0, s0, v0, v3
	s_wait_alu 0xf1ff
	v_add_co_ci_u32_e64 v1, s0, v1, v4, s0
	s_delay_alu instid0(VALU_DEP_2) | instskip(SKIP_1) | instid1(VALU_DEP_2)
	v_add_co_u32 v24, s0, v0, v2
	s_wait_alu 0xf1ff
	v_add_co_ci_u32_e64 v25, s0, 0, v1, s0
	s_clause 0x6
	global_load_b128 v[0:3], v[24:25], off
	global_load_b128 v[4:7], v[24:25], off offset:208
	global_load_b128 v[8:11], v[24:25], off offset:416
	;; [unrolled: 1-line block ×6, first 2 shown]
.LBB0_12:
	s_or_b32 exec_lo, exec_lo, s1
	s_wait_loadcnt 0x0
	v_add_f64_e32 v[29:30], v[24:25], v[4:5]
	v_add_f64_e32 v[31:32], v[26:27], v[6:7]
	;; [unrolled: 1-line block ×6, first 2 shown]
	v_add_f64_e64 v[8:9], v[8:9], -v[20:21]
	v_add_f64_e64 v[10:11], v[10:11], -v[22:23]
	;; [unrolled: 1-line block ×6, first 2 shown]
	s_mov_b32 s0, 0x37e14327
	s_mov_b32 s1, 0x3fe948f6
	;; [unrolled: 1-line block ×10, first 2 shown]
	s_load_b64 s[2:3], s[2:3], 0x0
                                        ; implicit-def: $vgpr50_vgpr51
	v_add_f64_e32 v[16:17], v[33:34], v[29:30]
	v_add_f64_e32 v[18:19], v[35:36], v[31:32]
	v_add_f64_e64 v[20:21], v[29:30], -v[37:38]
	v_add_f64_e64 v[22:23], v[31:32], -v[39:40]
	v_add_f64_e64 v[24:25], v[37:38], -v[33:34]
	v_add_f64_e64 v[26:27], v[39:40], -v[35:36]
	v_add_f64_e64 v[41:42], v[12:13], -v[8:9]
	v_add_f64_e64 v[43:44], v[14:15], -v[10:11]
	v_add_f64_e64 v[45:46], v[8:9], -v[4:5]
	v_add_f64_e64 v[47:48], v[10:11], -v[6:7]
	v_add_f64_e64 v[29:30], v[33:34], -v[29:30]
	v_add_f64_e64 v[31:32], v[35:36], -v[31:32]
	v_add_f64_e32 v[8:9], v[12:13], v[8:9]
	v_add_f64_e32 v[10:11], v[14:15], v[10:11]
	v_add_f64_e64 v[12:13], v[4:5], -v[12:13]
	v_add_f64_e64 v[14:15], v[6:7], -v[14:15]
	v_add_f64_e32 v[16:17], v[37:38], v[16:17]
	v_add_f64_e32 v[18:19], v[39:40], v[18:19]
	v_mul_f64_e32 v[20:21], s[0:1], v[20:21]
	v_mul_f64_e32 v[22:23], s[0:1], v[22:23]
	s_mov_b32 s0, 0x429ad128
	v_mul_f64_e32 v[33:34], s[4:5], v[24:25]
	v_mul_f64_e32 v[35:36], s[4:5], v[26:27]
	;; [unrolled: 1-line block ×4, first 2 shown]
	s_mov_b32 s1, 0xbfebfeb5
	s_mov_b32 s10, 0xaaaaaaaa
	s_wait_alu 0xfffe
	v_mul_f64_e32 v[41:42], s[0:1], v[45:46]
	v_mul_f64_e32 v[43:44], s[0:1], v[47:48]
	s_mov_b32 s11, 0xbff2aaaa
	v_add_f64_e32 v[4:5], v[8:9], v[4:5]
	v_add_f64_e32 v[6:7], v[10:11], v[6:7]
	;; [unrolled: 1-line block ×4, first 2 shown]
	v_fma_f64 v[8:9], v[24:25], s[4:5], v[20:21]
	v_fma_f64 v[10:11], v[26:27], s[4:5], v[22:23]
	v_fma_f64 v[24:25], v[29:30], s[12:13], -v[33:34]
	v_fma_f64 v[26:27], v[31:32], s[12:13], -v[35:36]
	s_mov_b32 s13, 0xbfe77f67
	v_fma_f64 v[33:34], v[12:13], s[14:15], v[37:38]
	v_fma_f64 v[35:36], v[14:15], s[14:15], v[39:40]
	s_mov_b32 s15, 0x3fd5d0dc
	v_fma_f64 v[37:38], v[45:46], s[0:1], -v[37:38]
	v_fma_f64 v[39:40], v[47:48], s[0:1], -v[39:40]
	s_wait_alu 0xfffe
	v_fma_f64 v[12:13], v[12:13], s[14:15], -v[41:42]
	v_fma_f64 v[14:15], v[14:15], s[14:15], -v[43:44]
	;; [unrolled: 1-line block ×4, first 2 shown]
	s_mov_b32 s0, 0x37c3f68c
	s_mov_b32 s1, 0xbfdc38aa
	v_fma_f64 v[16:17], v[16:17], s[10:11], v[0:1]
	v_fma_f64 v[18:19], v[18:19], s[10:11], v[2:3]
	s_wait_alu 0xfffe
	v_fma_f64 v[29:30], v[4:5], s[0:1], v[33:34]
	v_fma_f64 v[44:45], v[6:7], s[0:1], v[35:36]
	;; [unrolled: 1-line block ×6, first 2 shown]
	v_mul_hi_u32 v4, 0xaf286bcb, v28
	v_cmp_gt_u32_e64 s0, 7, v213
	s_delay_alu instid0(VALU_DEP_2) | instskip(NEXT) | instid1(VALU_DEP_1)
	v_sub_nc_u32_e32 v5, v28, v4
	v_lshrrev_b32_e32 v5, 1, v5
	v_add_f64_e32 v[46:47], v[8:9], v[16:17]
	v_add_f64_e32 v[48:49], v[10:11], v[18:19]
	;; [unrolled: 1-line block ×6, first 2 shown]
	v_add_nc_u32_e32 v16, v5, v4
	s_delay_alu instid0(VALU_DEP_1) | instskip(NEXT) | instid1(VALU_DEP_1)
	v_lshrrev_b32_e32 v16, 4, v16
	v_mul_lo_u32 v16, v16, 19
	s_delay_alu instid0(VALU_DEP_1) | instskip(SKIP_1) | instid1(VALU_DEP_2)
	v_sub_nc_u32_e32 v17, v28, v16
	v_mad_u32_u24 v16, 0x70, v213, 0
	v_mul_u32_u24_e32 v17, 0x5b, v17
	s_delay_alu instid0(VALU_DEP_1)
	v_lshl_add_u32 v18, v17, 4, v16
	v_add_f64_e32 v[24:25], v[44:45], v[46:47]
	v_add_f64_e64 v[26:27], v[48:49], -v[29:30]
	v_add_f64_e32 v[32:33], v[14:15], v[20:21]
	v_add_f64_e64 v[34:35], v[22:23], -v[12:13]
	v_add_f64_e64 v[4:5], v[8:9], -v[38:39]
	v_add_f64_e32 v[6:7], v[36:37], v[10:11]
	v_add_f64_e32 v[8:9], v[38:39], v[8:9]
	v_add_f64_e64 v[10:11], v[10:11], -v[36:37]
	v_add_f64_e64 v[40:41], v[20:21], -v[14:15]
	v_add_f64_e32 v[42:43], v[12:13], v[22:23]
	v_add_f64_e64 v[12:13], v[46:47], -v[44:45]
	v_add_f64_e32 v[14:15], v[29:30], v[48:49]
                                        ; implicit-def: $vgpr38_vgpr39
                                        ; implicit-def: $vgpr30_vgpr31
                                        ; implicit-def: $vgpr22_vgpr23
                                        ; implicit-def: $vgpr46_vgpr47
	ds_store_b128 v18, v[0:3]
	ds_store_b128 v18, v[24:27] offset:16
	ds_store_b128 v18, v[32:35] offset:32
	;; [unrolled: 1-line block ×6, first 2 shown]
	global_wb scope:SCOPE_SE
	s_wait_dscnt 0x0
	s_wait_kmcnt 0x0
	s_barrier_signal -1
	s_barrier_wait -1
	global_inv scope:SCOPE_SE
                                        ; implicit-def: $vgpr18_vgpr19
	s_and_saveexec_b32 s1, s0
	s_cbranch_execz .LBB0_14
; %bb.13:
	v_lshlrev_b32_e32 v0, 4, v17
	v_lshlrev_b32_e32 v1, 4, v213
	v_mul_i32_i24_e32 v2, 0xffffffa0, v213
	s_delay_alu instid0(VALU_DEP_2) | instskip(NEXT) | instid1(VALU_DEP_2)
	v_add3_u32 v1, 0, v0, v1
	v_add3_u32 v36, v16, v2, v0
	ds_load_b128 v[0:3], v1
	ds_load_b128 v[24:27], v36 offset:112
	ds_load_b128 v[32:35], v36 offset:224
	;; [unrolled: 1-line block ×12, first 2 shown]
.LBB0_14:
	s_wait_alu 0xfffe
	s_or_b32 exec_lo, exec_lo, s1
	v_cmp_gt_u32_e64 s1, 7, v213
	s_delay_alu instid0(VALU_DEP_1)
	s_and_b32 s1, vcc_lo, s1
	s_wait_alu 0xfffe
	s_and_saveexec_b32 s4, s1
	s_cbranch_execz .LBB0_16
; %bb.15:
	v_dual_mov_b32 v255, 0 :: v_dual_add_nc_u32 v56, -7, v213
	s_mov_b32 s18, 0x24c2f84
	s_mov_b32 s20, 0x4bc48dbf
	;; [unrolled: 1-line block ×3, first 2 shown]
	s_delay_alu instid0(VALU_DEP_1)
	v_cndmask_b32_e64 v56, v56, v213, s0
	s_mov_b32 s21, 0xbfcea1e5
	s_mov_b32 s0, 0x66966769
	;; [unrolled: 1-line block ×4, first 2 shown]
	v_mul_i32_i24_e32 v254, 12, v56
	s_mov_b32 s16, 0x93053d00
	s_mov_b32 s1, 0x3fefc445
	;; [unrolled: 1-line block ×4, first 2 shown]
	v_lshlrev_b64_e32 v[59:60], 4, v[254:255]
	s_mov_b32 s35, 0x3fddbe06
	s_mov_b32 s34, 0x4267c47c
	;; [unrolled: 1-line block ×5, first 2 shown]
	v_add_co_u32 v59, vcc_lo, s8, v59
	s_wait_alu 0xfffd
	v_add_co_ci_u32_e32 v60, vcc_lo, s9, v60, vcc_lo
	s_mov_b32 s8, 0xd0032e0c
	s_mov_b32 s9, 0xbfe7f3cc
	;; [unrolled: 1-line block ×3, first 2 shown]
	s_clause 0xb
	global_load_b128 v[61:64], v[59:60], off offset:64
	global_load_b128 v[65:68], v[59:60], off offset:112
	;; [unrolled: 1-line block ×4, first 2 shown]
	global_load_b128 v[77:80], v[59:60], off
	global_load_b128 v[81:84], v[59:60], off offset:176
	global_load_b128 v[85:88], v[59:60], off offset:32
	;; [unrolled: 1-line block ×7, first 2 shown]
	s_mov_b32 s37, 0x3fe5384d
	s_mov_b32 s39, 0x3fedeba7
	s_mov_b32 s26, s22
	s_wait_alu 0xfffe
	s_mov_b32 s28, s0
	s_mov_b32 s30, s20
	;; [unrolled: 1-line block ×12, first 2 shown]
	v_lshlrev_b64_e32 v[52:53], 4, v[52:53]
	v_mov_b32_e32 v214, v255
	s_wait_loadcnt_dscnt 0xb07
	v_mul_f64_e32 v[59:60], v[42:43], v[63:64]
	v_mul_f64_e32 v[63:64], v[40:41], v[63:64]
	s_wait_loadcnt_dscnt 0xa04
	v_mul_f64_e32 v[109:110], v[46:47], v[67:68]
	s_wait_loadcnt_dscnt 0x801
	v_mul_f64_e32 v[113:114], v[50:51], v[75:76]
	v_mul_f64_e32 v[75:76], v[48:49], v[75:76]
	s_wait_loadcnt 0x7
	v_mul_f64_e32 v[115:116], v[26:27], v[79:80]
	v_mul_f64_e32 v[79:80], v[24:25], v[79:80]
	s_wait_loadcnt_dscnt 0x600
	v_mul_f64_e32 v[117:118], v[38:39], v[83:84]
	v_mul_f64_e32 v[83:84], v[36:37], v[83:84]
	;; [unrolled: 1-line block ×5, first 2 shown]
	s_wait_loadcnt 0x5
	v_mul_f64_e32 v[119:120], v[6:7], v[87:88]
	s_wait_loadcnt 0x4
	v_mul_f64_e32 v[121:122], v[30:31], v[91:92]
	s_wait_loadcnt 0x3
	v_mul_f64_e32 v[123:124], v[10:11], v[95:96]
	s_wait_loadcnt 0x2
	v_mul_f64_e32 v[125:126], v[22:23], v[99:100]
	v_mul_f64_e32 v[87:88], v[4:5], v[87:88]
	v_mul_f64_e32 v[91:92], v[28:29], v[91:92]
	v_mul_f64_e32 v[95:96], v[8:9], v[95:96]
	v_mul_f64_e32 v[99:100], v[20:21], v[99:100]
	s_wait_loadcnt 0x1
	v_mul_f64_e32 v[127:128], v[14:15], v[103:104]
	s_wait_loadcnt 0x0
	v_mul_f64_e32 v[129:130], v[18:19], v[107:108]
	v_mul_f64_e32 v[103:104], v[12:13], v[103:104]
	;; [unrolled: 1-line block ×3, first 2 shown]
	v_fma_f64 v[131:132], v[40:41], v[61:62], v[59:60]
	v_fma_f64 v[61:62], v[42:43], v[61:62], -v[63:64]
	v_fma_f64 v[109:110], v[44:45], v[65:66], v[109:110]
	v_fma_f64 v[56:57], v[48:49], v[73:74], v[113:114]
	v_fma_f64 v[63:64], v[50:51], v[73:74], -v[75:76]
	v_fma_f64 v[48:49], v[24:25], v[77:78], v[115:116]
	v_fma_f64 v[50:51], v[26:27], v[77:78], -v[79:80]
	;; [unrolled: 2-line block ×3, first 2 shown]
	v_fma_f64 v[65:66], v[46:47], v[65:66], -v[67:68]
	v_fma_f64 v[44:45], v[32:33], v[69:70], v[111:112]
	v_fma_f64 v[46:47], v[34:35], v[69:70], -v[71:72]
	v_fma_f64 v[36:37], v[4:5], v[85:86], v[119:120]
	v_fma_f64 v[67:68], v[28:29], v[89:90], v[121:122]
	;; [unrolled: 1-line block ×4, first 2 shown]
	v_fma_f64 v[38:39], v[6:7], v[85:86], -v[87:88]
	v_fma_f64 v[4:5], v[30:31], v[89:90], -v[91:92]
	;; [unrolled: 1-line block ×4, first 2 shown]
	v_fma_f64 v[40:41], v[12:13], v[101:102], v[127:128]
	v_fma_f64 v[34:35], v[16:17], v[105:106], v[129:130]
	v_fma_f64 v[32:33], v[14:15], v[101:102], -v[103:104]
	v_fma_f64 v[26:27], v[18:19], v[105:106], -v[107:108]
	scratch_store_b64 off, v[131:132], off offset:8 ; 8-byte Folded Spill
	v_add_f64_e64 v[73:74], v[131:132], -v[109:110]
	scratch_store_b64 off, v[109:110], off  ; 8-byte Folded Spill
	v_dual_mov_b32 v6, v63 :: v_dual_mov_b32 v7, v64
	scratch_store_b64 off, v[56:57], off offset:40 ; 8-byte Folded Spill
	v_add_f64_e64 v[75:76], v[48:49], -v[24:25]
	v_add_f64_e64 v[77:78], v[50:51], -v[42:43]
	v_add_f64_e32 v[83:84], v[50:51], v[42:43]
	v_add_f64_e64 v[69:70], v[44:45], -v[56:57]
	v_add_f64_e64 v[71:72], v[46:47], -v[6:7]
	v_add_f64_e32 v[85:86], v[48:49], v[24:25]
	v_add_f64_e64 v[79:80], v[36:37], -v[67:68]
	v_add_f64_e32 v[50:51], v[2:3], v[50:51]
	;; [unrolled: 2-line block ×3, first 2 shown]
	scratch_store_b64 off, v[4:5], off offset:48 ; 8-byte Folded Spill
	v_dual_mov_b32 v10, v65 :: v_dual_mov_b32 v11, v66
	v_dual_mov_b32 v8, v67 :: v_dual_mov_b32 v9, v68
	v_add_f64_e64 v[67:68], v[38:39], -v[4:5]
	v_add_f64_e64 v[65:66], v[20:21], -v[58:59]
	s_delay_alu instid0(VALU_DEP_4)
	v_add_f64_e64 v[63:64], v[61:62], -v[10:11]
	v_add_f64_e64 v[30:31], v[40:41], -v[34:35]
	;; [unrolled: 1-line block ×3, first 2 shown]
	v_add_f64_e32 v[87:88], v[20:21], v[58:59]
	v_add_f64_e32 v[89:90], v[61:62], v[10:11]
	;; [unrolled: 1-line block ×5, first 2 shown]
	s_clause 0x2
	scratch_store_b64 off, v[24:25], off offset:16
	scratch_store_b64 off, v[42:43], off offset:24
	;; [unrolled: 1-line block ×3, first 2 shown]
	v_add_f64_e32 v[97:98], v[36:37], v[8:9]
	scratch_store_b64 off, v[6:7], off offset:32 ; 8-byte Folded Spill
	v_dual_mov_b32 v6, v211 :: v_dual_mov_b32 v7, v212
	v_dual_mov_b32 v43, v11 :: v_dual_mov_b32 v42, v10
	v_mul_f64_e32 v[103:104], s[34:35], v[73:74]
	v_mul_f64_e32 v[141:142], s[24:25], v[73:74]
	s_wait_alu 0xfffe
	v_mul_f64_e32 v[147:148], s[30:31], v[73:74]
	v_mul_f64_e32 v[149:150], s[26:27], v[73:74]
	;; [unrolled: 1-line block ×16, first 2 shown]
	v_add_f64_e32 v[46:47], v[46:47], v[50:51]
	v_mul_f64_e32 v[50:51], s[18:19], v[79:80]
	v_mul_f64_e32 v[155:156], s[26:27], v[79:80]
	;; [unrolled: 1-line block ×10, first 2 shown]
	v_add_f64_e32 v[44:45], v[44:45], v[48:49]
	v_mul_f64_e32 v[109:110], s[34:35], v[63:64]
	v_mul_f64_e32 v[117:118], s[34:35], v[67:68]
	;; [unrolled: 1-line block ×5, first 2 shown]
	s_mov_b32 s35, 0xbfddbe06
	v_mul_f64_e32 v[115:116], s[18:19], v[77:78]
	v_mul_f64_e32 v[121:122], s[24:25], v[75:76]
	;; [unrolled: 1-line block ×6, first 2 shown]
	v_fma_f64 v[181:182], v[83:84], s[16:17], v[105:106]
	v_fma_f64 v[183:184], v[85:86], s[16:17], -v[107:108]
	v_fma_f64 v[105:106], v[83:84], s[16:17], -v[105:106]
	v_fma_f64 v[107:108], v[85:86], s[16:17], v[107:108]
	v_fma_f64 v[185:186], v[83:84], s[8:9], v[113:114]
	v_fma_f64 v[113:114], v[83:84], s[8:9], -v[113:114]
	v_mul_f64_e32 v[137:138], s[26:27], v[77:78]
	v_mul_f64_e32 v[48:49], s[0:1], v[71:72]
	;; [unrolled: 1-line block ×6, first 2 shown]
	s_wait_alu 0xfffe
	v_mul_f64_e32 v[75:76], s[34:35], v[75:76]
	v_mul_f64_e32 v[77:78], s[34:35], v[77:78]
	v_fma_f64 v[201:202], v[87:88], s[4:5], v[139:140]
	v_fma_f64 v[203:204], v[89:90], s[14:15], v[141:142]
	v_fma_f64 v[139:140], v[87:88], s[4:5], -v[139:140]
	v_fma_f64 v[141:142], v[89:90], s[14:15], -v[141:142]
	v_fma_f64 v[205:206], v[87:88], s[16:17], v[143:144]
	v_fma_f64 v[207:208], v[89:90], s[10:11], v[103:104]
	v_fma_f64 v[143:144], v[87:88], s[16:17], -v[143:144]
	v_fma_f64 v[103:104], v[89:90], s[10:11], -v[103:104]
	v_fma_f64 v[209:210], v[89:90], s[16:17], v[147:148]
	v_fma_f64 v[147:148], v[89:90], s[16:17], -v[147:148]
	v_fma_f64 v[4:5], v[89:90], s[4:5], v[149:150]
	;; [unrolled: 2-line block ×8, first 2 shown]
	v_fma_f64 v[81:82], v[87:88], s[14:15], -v[81:82]
	v_add_f64_e32 v[38:39], v[38:39], v[46:47]
	v_fma_f64 v[46:47], v[91:92], s[8:9], v[50:51]
	v_fma_f64 v[50:51], v[91:92], s[8:9], -v[50:51]
	v_fma_f64 v[87:88], v[91:92], s[4:5], v[155:156]
	v_fma_f64 v[155:156], v[91:92], s[4:5], -v[155:156]
	v_fma_f64 v[223:224], v[91:92], s[10:11], v[111:112]
	v_fma_f64 v[111:112], v[91:92], s[10:11], -v[111:112]
	v_fma_f64 v[225:226], v[91:92], s[14:15], v[157:158]
	v_fma_f64 v[157:158], v[91:92], s[14:15], -v[157:158]
	v_fma_f64 v[227:228], v[91:92], s[16:17], v[159:160]
	v_fma_f64 v[159:160], v[91:92], s[16:17], -v[159:160]
	v_fma_f64 v[229:230], v[91:92], s[12:13], v[79:80]
	v_fma_f64 v[79:80], v[91:92], s[12:13], -v[79:80]
	v_fma_f64 v[91:92], v[93:94], s[10:11], v[99:100]
	v_fma_f64 v[99:100], v[93:94], s[10:11], -v[99:100]
	v_fma_f64 v[231:232], v[93:94], s[12:13], v[161:162]
	v_fma_f64 v[161:162], v[93:94], s[12:13], -v[161:162]
	v_fma_f64 v[233:234], v[93:94], s[8:9], v[163:164]
	v_fma_f64 v[163:164], v[93:94], s[8:9], -v[163:164]
	v_fma_f64 v[235:236], v[93:94], s[16:17], v[165:166]
	v_fma_f64 v[165:166], v[93:94], s[16:17], -v[165:166]
	v_fma_f64 v[237:238], v[93:94], s[14:15], v[167:168]
	v_fma_f64 v[167:168], v[93:94], s[14:15], -v[167:168]
	v_fma_f64 v[239:240], v[93:94], s[4:5], v[69:70]
	v_fma_f64 v[69:70], v[93:94], s[4:5], -v[69:70]
	v_fma_f64 v[93:94], v[95:96], s[10:11], -v[101:102]
	v_fma_f64 v[101:102], v[95:96], s[10:11], v[101:102]
	v_add_f64_e32 v[36:37], v[36:37], v[44:45]
	v_add_f64_e32 v[181:182], v[2:3], v[181:182]
	;; [unrolled: 1-line block ×6, first 2 shown]
	v_mul_f64_e32 v[175:176], s[18:19], v[67:68]
	v_mul_f64_e32 v[177:178], s[26:27], v[67:68]
	;; [unrolled: 1-line block ×3, first 2 shown]
	v_fma_f64 v[187:188], v[85:86], s[8:9], -v[115:116]
	v_fma_f64 v[115:116], v[85:86], s[8:9], v[115:116]
	v_fma_f64 v[189:190], v[83:84], s[14:15], v[121:122]
	v_fma_f64 v[191:192], v[85:86], s[14:15], -v[123:124]
	v_fma_f64 v[121:122], v[83:84], s[14:15], -v[121:122]
	v_fma_f64 v[123:124], v[85:86], s[14:15], v[123:124]
	v_fma_f64 v[193:194], v[83:84], s[12:13], v[129:130]
	v_fma_f64 v[195:196], v[85:86], s[12:13], -v[131:132]
	;; [unrolled: 4-line block ×3, first 2 shown]
	v_fma_f64 v[135:136], v[83:84], s[4:5], -v[135:136]
	v_fma_f64 v[137:138], v[85:86], s[4:5], v[137:138]
	v_fma_f64 v[241:242], v[95:96], s[12:13], -v[48:49]
	v_fma_f64 v[48:49], v[95:96], s[12:13], v[48:49]
	;; [unrolled: 2-line block ×4, first 2 shown]
	v_fma_f64 v[247:248], v[83:84], s[10:11], v[75:76]
	v_fma_f64 v[249:250], v[85:86], s[10:11], -v[77:78]
	v_fma_f64 v[75:76], v[83:84], s[10:11], -v[75:76]
	v_fma_f64 v[77:78], v[85:86], s[10:11], v[77:78]
	v_fma_f64 v[83:84], v[95:96], s[14:15], -v[173:174]
	v_fma_f64 v[85:86], v[95:96], s[14:15], v[173:174]
	;; [unrolled: 2-line block ×3, first 2 shown]
	v_mul_f64_e32 v[95:96], s[20:21], v[67:68]
	v_mul_f64_e32 v[67:68], s[28:29], v[67:68]
	v_add_f64_e32 v[20:21], v[20:21], v[38:39]
	v_add_f64_e32 v[211:212], v[28:29], v[6:7]
	;; [unrolled: 1-line block ×8, first 2 shown]
	scratch_load_b64 v[113:114], off, off offset:8 th:TH_LOAD_LU ; 8-byte Folded Reload
	scratch_store_b64 off, v[4:5], off offset:64 ; 8-byte Folded Spill
	v_fma_f64 v[38:39], v[97:98], s[8:9], -v[175:176]
	v_fma_f64 v[44:45], v[97:98], s[8:9], v[175:176]
	v_fma_f64 v[175:176], v[97:98], s[4:5], -v[177:178]
	v_fma_f64 v[177:178], v[97:98], s[4:5], v[177:178]
	v_add_f64_e32 v[185:186], v[2:3], v[185:186]
	v_add_f64_e32 v[187:188], v[0:1], v[187:188]
	;; [unrolled: 1-line block ×19, first 2 shown]
	v_fma_f64 v[75:76], v[97:98], s[10:11], -v[117:118]
	v_fma_f64 v[77:78], v[97:98], s[10:11], v[117:118]
	v_fma_f64 v[117:118], v[97:98], s[14:15], -v[179:180]
	v_fma_f64 v[179:180], v[97:98], s[14:15], v[179:180]
	;; [unrolled: 2-line block ×4, first 2 shown]
	v_add_f64_e32 v[20:21], v[61:62], v[20:21]
	v_mul_f64_e32 v[61:62], s[22:23], v[65:66]
	v_mul_f64_e32 v[97:98], s[30:31], v[65:66]
	;; [unrolled: 1-line block ×5, first 2 shown]
	v_fma_f64 v[16:17], v[211:212], s[10:11], -v[125:126]
	v_fma_f64 v[125:126], v[211:212], s[10:11], v[125:126]
	v_mul_f64_e32 v[181:182], s[26:27], v[63:64]
	v_add_f64_e32 v[36:37], v[46:47], v[36:37]
	v_add_f64_e32 v[38:39], v[38:39], v[91:92]
	;; [unrolled: 1-line block ×8, first 2 shown]
	v_mul_f64_e32 v[163:164], s[0:1], v[63:64]
	v_add_f64_e32 v[123:124], v[169:170], v[123:124]
	v_add_f64_e32 v[187:188], v[245:246], v[195:196]
	;; [unrolled: 1-line block ×9, first 2 shown]
	v_mul_f64_e32 v[169:170], s[0:1], v[30:31]
	v_add_f64_e32 v[2:3], v[69:70], v[2:3]
	v_add_f64_e32 v[4:5], v[71:72], v[4:5]
	;; [unrolled: 1-line block ×3, first 2 shown]
	v_mul_f64_e32 v[185:186], s[0:1], v[22:23]
	v_mul_f64_e32 v[165:166], s[24:25], v[22:23]
	;; [unrolled: 1-line block ×7, first 2 shown]
	v_add_f64_e32 v[20:21], v[32:33], v[20:21]
	v_fma_f64 v[8:9], v[211:212], s[4:5], -v[61:62]
	v_fma_f64 v[61:62], v[211:212], s[4:5], v[61:62]
	v_fma_f64 v[10:11], v[211:212], s[16:17], -v[97:98]
	v_fma_f64 v[97:98], v[211:212], s[16:17], v[97:98]
	;; [unrolled: 2-line block ×5, first 2 shown]
	scratch_load_b64 v[211:212], off, off th:TH_LOAD_LU ; 8-byte Folded Reload
	v_add_f64_e32 v[32:33], v[32:33], v[26:27]
	v_add_f64_e32 v[50:51], v[87:88], v[101:102]
	v_add_f64_e32 v[87:88], v[155:156], v[107:108]
	v_add_f64_e32 v[75:76], v[75:76], v[161:162]
	v_add_f64_e32 v[93:94], v[111:112], v[121:122]
	v_add_f64_e32 v[195:196], v[239:240], v[247:248]
	v_add_f64_e32 v[77:78], v[77:78], v[123:124]
	v_add_f64_e32 v[107:108], v[117:118], v[187:188]
	v_add_f64_e32 v[36:37], v[201:202], v[36:37]
	v_add_f64_e32 v[99:100], v[157:158], v[129:130]
	v_add_f64_e32 v[111:112], v[227:228], v[191:192]
	v_add_f64_e32 v[83:84], v[251:252], v[83:84]
	v_add_f64_e32 v[101:102], v[159:160], v[135:136]
	v_add_f64_e32 v[85:86], v[95:96], v[85:86]
	v_add_f64_e32 v[95:96], v[179:180], v[131:132]
	v_add_f64_e32 v[2:3], v[79:80], v[2:3]
	v_add_f64_e32 v[4:5], v[67:68], v[4:5]
	v_add_f64_e32 v[20:21], v[26:27], v[20:21]
	v_add_f64_e32 v[44:45], v[61:62], v[44:45]
	v_fma_f64 v[131:132], v[32:33], s[4:5], v[171:172]
	v_fma_f64 v[155:156], v[32:33], s[4:5], -v[171:172]
	v_fma_f64 v[157:158], v[32:33], s[8:9], v[137:138]
	v_add_f64_e32 v[0:1], v[0:1], v[77:78]
	v_add_f64_e32 v[14:15], v[14:15], v[83:84]
	;; [unrolled: 1-line block ×6, first 2 shown]
	v_fma_f64 v[81:82], v[32:33], s[10:11], -v[127:128]
	v_add_f64_e32 v[20:21], v[42:43], v[20:21]
	v_add_f64_e32 v[42:43], v[253:254], v[69:70]
	v_fma_f64 v[69:70], v[32:33], s[12:13], -v[169:170]
	v_add_f64_e32 v[73:74], v[73:74], v[2:3]
	s_delay_alu instid0(VALU_DEP_4) | instskip(SKIP_4) | instid1(VALU_DEP_2)
	v_add_f64_e32 v[20:21], v[58:59], v[20:21]
	v_fma_f64 v[58:59], v[32:33], s[12:13], v[169:170]
	s_wait_loadcnt 0x1
	v_add_f64_e32 v[26:27], v[113:114], v[28:29]
	v_add_f64_e32 v[28:29], v[40:41], v[34:35]
	;; [unrolled: 1-line block ×4, first 2 shown]
	v_mul_f64_e32 v[48:49], s[24:25], v[63:64]
	v_mul_f64_e32 v[115:116], s[30:31], v[63:64]
	;; [unrolled: 1-line block ×3, first 2 shown]
	v_fma_f64 v[67:68], v[28:29], s[12:13], -v[185:186]
	v_fma_f64 v[79:80], v[28:29], s[12:13], v[185:186]
	v_fma_f64 v[121:122], v[28:29], s[14:15], -v[165:166]
	v_fma_f64 v[129:130], v[28:29], s[14:15], v[165:166]
	;; [unrolled: 2-line block ×3, first 2 shown]
	v_add_f64_e32 v[26:27], v[34:35], v[26:27]
	v_add_f64_e32 v[40:41], v[177:178], v[40:41]
	s_wait_loadcnt 0x0
	v_add_f64_e32 v[34:35], v[113:114], v[211:212]
	v_add_f64_e32 v[113:114], v[233:234], v[189:190]
	v_mul_f64_e32 v[189:190], s[24:25], v[30:31]
	v_mul_f64_e32 v[30:31], s[20:21], v[30:31]
	v_add_f64_e32 v[26:27], v[211:212], v[26:27]
	v_add_f64_e32 v[40:41], v[97:98], v[40:41]
	v_fma_f64 v[97:98], v[28:29], s[8:9], -v[193:194]
	v_fma_f64 v[71:72], v[34:35], s[14:15], -v[48:49]
	v_fma_f64 v[48:49], v[34:35], s[14:15], v[48:49]
	v_fma_f64 v[173:174], v[34:35], s[10:11], -v[109:110]
	v_fma_f64 v[109:110], v[34:35], s[10:11], v[109:110]
	;; [unrolled: 2-line block ×6, first 2 shown]
	v_add_f64_e32 v[63:64], v[175:176], v[105:106]
	v_add_f64_e32 v[105:106], v[225:226], v[183:184]
	;; [unrolled: 1-line block ×3, first 2 shown]
	v_fma_f64 v[117:118], v[32:33], s[14:15], v[189:190]
	v_fma_f64 v[123:124], v[32:33], s[14:15], -v[189:190]
	v_add_f64_e32 v[113:114], v[229:230], v[195:196]
	v_add_f64_e32 v[26:27], v[6:7], v[26:27]
	;; [unrolled: 1-line block ×7, first 2 shown]
	v_fma_f64 v[101:102], v[28:29], s[10:11], -v[133:134]
	v_add_f64_e32 v[40:41], v[109:110], v[40:41]
	v_add_f64_e32 v[56:57], v[163:164], v[56:57]
	;; [unrolled: 1-line block ×5, first 2 shown]
	scratch_load_b64 v[16:17], off, off offset:48 th:TH_LOAD_LU ; 8-byte Folded Reload
	v_add_f64_e32 v[75:76], v[119:120], v[99:100]
	v_add_f64_e32 v[77:78], v[217:218], v[105:106]
	;; [unrolled: 1-line block ×4, first 2 shown]
	v_fma_f64 v[64:65], v[32:33], s[10:11], v[127:128]
	v_fma_f64 v[91:92], v[32:33], s[16:17], v[30:31]
	v_fma_f64 v[93:94], v[32:33], s[16:17], -v[30:31]
	v_fma_f64 v[99:100], v[28:29], s[8:9], v[193:194]
	v_fma_f64 v[105:106], v[28:29], s[16:17], -v[22:23]
	v_fma_f64 v[107:108], v[28:29], s[16:17], v[22:23]
	v_add_f64_e32 v[89:90], v[219:220], v[111:112]
	v_add_f64_e32 v[30:31], v[48:49], v[44:45]
	;; [unrolled: 1-line block ×6, first 2 shown]
	scratch_load_b64 v[0:1], off, off offset:64 th:TH_LOAD_LU ; 8-byte Folded Reload
	v_add_f64_e32 v[36:37], v[207:208], v[46:47]
	v_add_f64_e32 v[8:9], v[173:174], v[8:9]
	;; [unrolled: 1-line block ×18, first 2 shown]
	s_wait_loadcnt 0x1
	v_add_f64_e32 v[20:21], v[16:17], v[20:21]
	scratch_load_b64 v[16:17], off, off offset:56 th:TH_LOAD_LU ; 8-byte Folded Reload
	s_wait_loadcnt 0x0
	v_add_f64_e32 v[26:27], v[16:17], v[26:27]
	v_add_f64_e32 v[16:17], v[18:19], v[42:43]
	v_fma_f64 v[42:43], v[32:33], s[8:9], -v[137:138]
	v_fma_f64 v[32:33], v[28:29], s[10:11], v[133:134]
	v_add_f64_e32 v[28:29], v[141:142], v[38:39]
	v_add_f64_e32 v[38:39], v[103:104], v[50:51]
	v_add_f64_e32 v[50:51], v[149:150], v[75:76]
	v_add_f64_e32 v[75:76], v[0:1], v[77:78]
	scratch_load_b64 v[0:1], off, off offset:32 th:TH_LOAD_LU ; 8-byte Folded Reload
	v_add_f64_e32 v[77:78], v[199:200], v[12:13]
	v_add_f64_e32 v[12:13], v[129:130], v[40:41]
	;; [unrolled: 1-line block ×11, first 2 shown]
	scratch_load_b64 v[24:25], off, off offset:24 th:TH_LOAD_LU ; 8-byte Folded Reload
	v_add_f64_e32 v[38:39], v[157:158], v[75:76]
	v_add_f64_e32 v[36:37], v[97:98], v[77:78]
	;; [unrolled: 1-line block ×4, first 2 shown]
	s_wait_loadcnt 0x1
	v_add_f64_e32 v[89:90], v[0:1], v[20:21]
	scratch_load_b64 v[0:1], off, off offset:40 th:TH_LOAD_LU ; 8-byte Folded Reload
	v_add_f64_e32 v[20:21], v[95:96], v[71:72]
	s_wait_loadcnt 0x0
	v_add_f64_e32 v[103:104], v[0:1], v[26:27]
	v_add_f64_e32 v[26:27], v[24:25], v[89:90]
	scratch_load_b64 v[24:25], off, off offset:16 th:TH_LOAD_LU ; 8-byte Folded Reload
	v_mul_lo_u32 v0, s3, v54
	v_mul_lo_u32 v1, s2, v55
	v_mad_co_u64_u32 v[54:55], null, s2, v54, 0
	s_delay_alu instid0(VALU_DEP_1) | instskip(SKIP_3) | instid1(VALU_DEP_4)
	v_add3_u32 v55, v55, v1, v0
	v_add_f64_e32 v[0:1], v[67:68], v[6:7]
	v_add_f64_e32 v[6:7], v[69:70], v[28:29]
	;; [unrolled: 1-line block ×3, first 2 shown]
	v_lshlrev_b64_e32 v[54:55], 4, v[54:55]
	s_delay_alu instid0(VALU_DEP_1) | instskip(SKIP_1) | instid1(VALU_DEP_2)
	v_add_co_u32 v56, vcc_lo, s6, v54
	s_wait_alu 0xfffd
	v_add_co_ci_u32_e32 v57, vcc_lo, s7, v55, vcc_lo
	v_lshlrev_b64_e32 v[54:55], 4, v[213:214]
	s_delay_alu instid0(VALU_DEP_3) | instskip(SKIP_1) | instid1(VALU_DEP_3)
	v_add_co_u32 v52, vcc_lo, v56, v52
	s_wait_alu 0xfffd
	v_add_co_ci_u32_e32 v53, vcc_lo, v57, v53, vcc_lo
	s_delay_alu instid0(VALU_DEP_2) | instskip(SKIP_1) | instid1(VALU_DEP_2)
	v_add_co_u32 v52, vcc_lo, v52, v54
	s_wait_alu 0xfffd
	v_add_co_ci_u32_e32 v53, vcc_lo, v53, v55, vcc_lo
	s_wait_loadcnt 0x0
	v_add_f64_e32 v[24:25], v[24:25], v[103:104]
	s_clause 0xc
	global_store_b128 v[52:53], v[32:35], off offset:224
	global_store_b128 v[52:53], v[28:31], off offset:336
	;; [unrolled: 1-line block ×11, first 2 shown]
	global_store_b128 v[52:53], v[24:27], off
	global_store_b128 v[52:53], v[44:47], off offset:1344
.LBB0_16:
	s_endpgm
	.section	.rodata,"a",@progbits
	.p2align	6, 0x0
	.amdhsa_kernel fft_rtc_back_len91_factors_7_13_wgs_247_tpt_13_dp_op_CI_CI_unitstride_sbrr_dirReg
		.amdhsa_group_segment_fixed_size 0
		.amdhsa_private_segment_fixed_size 76
		.amdhsa_kernarg_size 104
		.amdhsa_user_sgpr_count 2
		.amdhsa_user_sgpr_dispatch_ptr 0
		.amdhsa_user_sgpr_queue_ptr 0
		.amdhsa_user_sgpr_kernarg_segment_ptr 1
		.amdhsa_user_sgpr_dispatch_id 0
		.amdhsa_user_sgpr_private_segment_size 0
		.amdhsa_wavefront_size32 1
		.amdhsa_uses_dynamic_stack 0
		.amdhsa_enable_private_segment 1
		.amdhsa_system_sgpr_workgroup_id_x 1
		.amdhsa_system_sgpr_workgroup_id_y 0
		.amdhsa_system_sgpr_workgroup_id_z 0
		.amdhsa_system_sgpr_workgroup_info 0
		.amdhsa_system_vgpr_workitem_id 0
		.amdhsa_next_free_vgpr 256
		.amdhsa_next_free_sgpr 40
		.amdhsa_reserve_vcc 1
		.amdhsa_float_round_mode_32 0
		.amdhsa_float_round_mode_16_64 0
		.amdhsa_float_denorm_mode_32 3
		.amdhsa_float_denorm_mode_16_64 3
		.amdhsa_fp16_overflow 0
		.amdhsa_workgroup_processor_mode 1
		.amdhsa_memory_ordered 1
		.amdhsa_forward_progress 0
		.amdhsa_round_robin_scheduling 0
		.amdhsa_exception_fp_ieee_invalid_op 0
		.amdhsa_exception_fp_denorm_src 0
		.amdhsa_exception_fp_ieee_div_zero 0
		.amdhsa_exception_fp_ieee_overflow 0
		.amdhsa_exception_fp_ieee_underflow 0
		.amdhsa_exception_fp_ieee_inexact 0
		.amdhsa_exception_int_div_zero 0
	.end_amdhsa_kernel
	.text
.Lfunc_end0:
	.size	fft_rtc_back_len91_factors_7_13_wgs_247_tpt_13_dp_op_CI_CI_unitstride_sbrr_dirReg, .Lfunc_end0-fft_rtc_back_len91_factors_7_13_wgs_247_tpt_13_dp_op_CI_CI_unitstride_sbrr_dirReg
                                        ; -- End function
	.section	.AMDGPU.csdata,"",@progbits
; Kernel info:
; codeLenInByte = 6240
; NumSgprs: 42
; NumVgprs: 256
; ScratchSize: 76
; MemoryBound: 1
; FloatMode: 240
; IeeeMode: 1
; LDSByteSize: 0 bytes/workgroup (compile time only)
; SGPRBlocks: 5
; VGPRBlocks: 31
; NumSGPRsForWavesPerEU: 42
; NumVGPRsForWavesPerEU: 256
; Occupancy: 5
; WaveLimiterHint : 1
; COMPUTE_PGM_RSRC2:SCRATCH_EN: 1
; COMPUTE_PGM_RSRC2:USER_SGPR: 2
; COMPUTE_PGM_RSRC2:TRAP_HANDLER: 0
; COMPUTE_PGM_RSRC2:TGID_X_EN: 1
; COMPUTE_PGM_RSRC2:TGID_Y_EN: 0
; COMPUTE_PGM_RSRC2:TGID_Z_EN: 0
; COMPUTE_PGM_RSRC2:TIDIG_COMP_CNT: 0
	.text
	.p2alignl 7, 3214868480
	.fill 96, 4, 3214868480
	.type	__hip_cuid_ca12266926eb030e,@object ; @__hip_cuid_ca12266926eb030e
	.section	.bss,"aw",@nobits
	.globl	__hip_cuid_ca12266926eb030e
__hip_cuid_ca12266926eb030e:
	.byte	0                               ; 0x0
	.size	__hip_cuid_ca12266926eb030e, 1

	.ident	"AMD clang version 19.0.0git (https://github.com/RadeonOpenCompute/llvm-project roc-6.4.0 25133 c7fe45cf4b819c5991fe208aaa96edf142730f1d)"
	.section	".note.GNU-stack","",@progbits
	.addrsig
	.addrsig_sym __hip_cuid_ca12266926eb030e
	.amdgpu_metadata
---
amdhsa.kernels:
  - .args:
      - .actual_access:  read_only
        .address_space:  global
        .offset:         0
        .size:           8
        .value_kind:     global_buffer
      - .offset:         8
        .size:           8
        .value_kind:     by_value
      - .actual_access:  read_only
        .address_space:  global
        .offset:         16
        .size:           8
        .value_kind:     global_buffer
      - .actual_access:  read_only
        .address_space:  global
        .offset:         24
        .size:           8
        .value_kind:     global_buffer
      - .actual_access:  read_only
        .address_space:  global
        .offset:         32
        .size:           8
        .value_kind:     global_buffer
      - .offset:         40
        .size:           8
        .value_kind:     by_value
      - .actual_access:  read_only
        .address_space:  global
        .offset:         48
        .size:           8
        .value_kind:     global_buffer
      - .actual_access:  read_only
        .address_space:  global
        .offset:         56
        .size:           8
        .value_kind:     global_buffer
      - .offset:         64
        .size:           4
        .value_kind:     by_value
      - .actual_access:  read_only
        .address_space:  global
        .offset:         72
        .size:           8
        .value_kind:     global_buffer
      - .actual_access:  read_only
        .address_space:  global
        .offset:         80
        .size:           8
        .value_kind:     global_buffer
      - .actual_access:  read_only
        .address_space:  global
        .offset:         88
        .size:           8
        .value_kind:     global_buffer
      - .actual_access:  write_only
        .address_space:  global
        .offset:         96
        .size:           8
        .value_kind:     global_buffer
    .group_segment_fixed_size: 0
    .kernarg_segment_align: 8
    .kernarg_segment_size: 104
    .language:       OpenCL C
    .language_version:
      - 2
      - 0
    .max_flat_workgroup_size: 247
    .name:           fft_rtc_back_len91_factors_7_13_wgs_247_tpt_13_dp_op_CI_CI_unitstride_sbrr_dirReg
    .private_segment_fixed_size: 76
    .sgpr_count:     42
    .sgpr_spill_count: 0
    .symbol:         fft_rtc_back_len91_factors_7_13_wgs_247_tpt_13_dp_op_CI_CI_unitstride_sbrr_dirReg.kd
    .uniform_work_group_size: 1
    .uses_dynamic_stack: false
    .vgpr_count:     256
    .vgpr_spill_count: 18
    .wavefront_size: 32
    .workgroup_processor_mode: 1
amdhsa.target:   amdgcn-amd-amdhsa--gfx1201
amdhsa.version:
  - 1
  - 2
...

	.end_amdgpu_metadata
